;; amdgpu-corpus repo=zjin-lcf/HeCBench kind=compiled arch=gfx90a opt=O3
	.text
	.amdgcn_target "amdgcn-amd-amdhsa--gfx90a"
	.amdhsa_code_object_version 6
	.protected	_Z10SimulationPfS_PKfS1_Pmmjif ; -- Begin function _Z10SimulationPfS_PKfS1_Pmmjif
	.globl	_Z10SimulationPfS_PKfS1_Pmmjif
	.p2align	8
	.type	_Z10SimulationPfS_PKfS1_Pmmjif,@function
_Z10SimulationPfS_PKfS1_Pmmjif:         ; @_Z10SimulationPfS_PKfS1_Pmmjif
; %bb.0:
	s_load_dword s2, s[4:5], 0x4c
	s_load_dwordx2 s[0:1], s[4:5], 0x28
	v_mov_b32_e32 v9, 0
	s_waitcnt lgkmcnt(0)
	s_and_b32 s2, s2, 0xffff
	s_mul_i32 s6, s6, s2
	v_add_u32_e32 v8, s6, v0
	v_cmp_gt_u64_e32 vcc, s[0:1], v[8:9]
	s_and_saveexec_b64 s[2:3], vcc
	s_cbranch_execz .LBB0_8
; %bb.1:
	s_load_dwordx4 s[12:15], s[4:5], 0x0
	s_load_dwordx4 s[8:11], s[4:5], 0x30
	v_lshlrev_b64 v[6:7], 2, v[8:9]
	s_mov_b32 s7, 0
	s_waitcnt lgkmcnt(0)
	v_mov_b32_e32 v1, s13
	v_add_co_u32_e32 v0, vcc, s12, v6
	v_addc_co_u32_e32 v1, vcc, v1, v7, vcc
	v_mov_b32_e32 v2, s15
	v_add_co_u32_e32 v4, vcc, s14, v6
	v_addc_co_u32_e32 v5, vcc, v2, v7, vcc
	global_load_dword v3, v[0:1], off
	global_load_dword v2, v[4:5], off
	s_cmp_eq_u32 s8, 0
	s_cbranch_scc1 .LBB0_7
; %bb.2:
	s_load_dwordx4 s[12:15], s[4:5], 0x10
	s_load_dwordx2 s[2:3], s[4:5], 0x20
	s_mul_i32 s4, s9, s9
	v_mad_u64_u32 v[10:11], s[4:5], s4, v8, 0
	s_mov_b32 s6, s8
	s_mul_hi_i32 s8, s9, s9
	v_mov_b32_e32 v12, v11
	v_mad_u64_u32 v[8:9], s[4:5], s8, v8, v[12:13]
	v_mov_b32_e32 v11, v8
	v_cvt_f32_i32_e32 v8, s9
	v_lshlrev_b64 v[10:11], 3, v[10:11]
	s_waitcnt lgkmcnt(0)
	v_mov_b32_e32 v12, s3
	v_add_co_u32_e32 v10, vcc, s2, v10
	s_lshl_b64 s[4:5], s[0:1], 2
	v_mul_f32_e64 v9, s10, s10
	v_addc_co_u32_e32 v11, vcc, v12, v11, vcc
	v_mov_b32_e32 v12, s13
	v_mov_b32_e32 v13, s15
	s_mov_b32 s13, 0x447a0000
	s_mov_b32 s8, 0xbd4ac083
	v_mov_b32_e32 v14, s5
	s_branch .LBB0_4
.LBB0_3:                                ;   in Loop: Header=BB0_4 Depth=1
	s_or_b64 exec, exec, s[10:11]
	s_add_u32 s6, s6, -1
	s_addc_u32 s7, s7, -1
	v_add_co_u32_e32 v6, vcc, s4, v6
	s_cmp_lg_u64 s[6:7], 0
	v_addc_co_u32_e32 v7, vcc, v7, v14, vcc
	s_cbranch_scc0 .LBB0_7
.LBB0_4:                                ; =>This Inner Loop Header: Depth=1
	v_add_co_u32_e32 v16, vcc, s12, v6
	v_addc_co_u32_e32 v17, vcc, v12, v7, vcc
	global_load_dword v15, v[16:17], off
	v_add_co_u32_e32 v16, vcc, s14, v6
	v_addc_co_u32_e32 v17, vcc, v13, v7, vcc
	global_load_dword v16, v[16:17], off
	s_waitcnt vmcnt(1)
	v_div_scale_f32 v17, s[0:1], s13, s13, v15
	v_rcp_f32_e32 v20, v17
	v_div_scale_f32 v18, vcc, v15, s13, v15
	s_waitcnt vmcnt(0)
	v_div_scale_f32 v19, s[0:1], s13, s13, v16
	v_rcp_f32_e32 v21, v19
	v_fma_f32 v23, -v17, v20, 1.0
	v_fmac_f32_e32 v20, v23, v20
	v_div_scale_f32 v22, s[0:1], v16, s13, v16
	v_fma_f32 v24, -v19, v21, 1.0
	v_fmac_f32_e32 v21, v24, v21
	v_mul_f32_e32 v23, v18, v20
	v_mul_f32_e32 v24, v22, v21
	v_fma_f32 v25, -v17, v23, v18
	v_fma_f32 v26, -v19, v24, v22
	v_fmac_f32_e32 v23, v25, v20
	v_fmac_f32_e32 v24, v26, v21
	v_fma_f32 v17, -v17, v23, v18
	v_fma_f32 v18, -v19, v24, v22
	v_div_fmas_f32 v17, v17, v20, v23
	s_mov_b64 vcc, s[0:1]
	v_div_fixup_f32 v17, v17, s13, v15
	v_div_fmas_f32 v15, v18, v21, v24
	v_div_fixup_f32 v16, v15, s13, v16
	v_pk_add_f32 v[16:17], v[16:17], s[8:9] op_sel_hi:[1,0]
	v_pk_add_f32 v[2:3], v[2:3], v[16:17]
	v_cmp_lt_f32_e32 vcc, v3, v8
	s_and_saveexec_b64 s[10:11], vcc
	s_cbranch_execz .LBB0_3
; %bb.5:                                ;   in Loop: Header=BB0_4 Depth=1
	v_trunc_f32_e32 v15, v2
	v_sub_f32_e32 v15, v2, v15
	v_trunc_f32_e32 v16, v3
	v_sub_f32_e32 v16, v3, v16
	v_cmp_le_f32_e64 s[0:1], 0, v3
	v_cmp_le_f32_e64 s[2:3], 0, v2
	v_mul_f32_e32 v15, v15, v15
	v_cmp_lt_f32_e32 vcc, v2, v8
	s_and_b64 s[0:1], s[0:1], s[2:3]
	v_fmac_f32_e32 v15, v16, v16
	s_and_b64 s[0:1], s[0:1], vcc
	v_cmp_le_f32_e32 vcc, v15, v9
	s_and_b64 s[0:1], s[0:1], vcc
	s_and_b64 exec, exec, s[0:1]
	s_cbranch_execz .LBB0_3
; %bb.6:                                ;   in Loop: Header=BB0_4 Depth=1
	v_floor_f32_e32 v16, v2
	v_cvt_i32_f32_e32 v17, v16
	v_floor_f32_e32 v15, v3
	v_cvt_i32_f32_e32 v16, v15
	v_mul_lo_u32 v18, v17, s9
	v_ashrrev_i32_e32 v19, 31, v18
	v_lshlrev_b64 v[18:19], 3, v[18:19]
	v_ashrrev_i32_e32 v17, 31, v16
	v_add_co_u32_e32 v15, vcc, v10, v18
	v_addc_co_u32_e32 v18, vcc, v11, v19, vcc
	v_lshlrev_b64 v[16:17], 3, v[16:17]
	v_add_co_u32_e32 v16, vcc, v15, v16
	v_addc_co_u32_e32 v17, vcc, v18, v17, vcc
	global_load_dwordx2 v[18:19], v[16:17], off
	s_waitcnt vmcnt(0)
	v_add_co_u32_e32 v18, vcc, 1, v18
	v_addc_co_u32_e32 v19, vcc, 0, v19, vcc
	global_store_dwordx2 v[16:17], v[18:19], off
	s_branch .LBB0_3
.LBB0_7:
	s_waitcnt vmcnt(1)
	global_store_dword v[0:1], v3, off
	s_waitcnt vmcnt(1)
	global_store_dword v[4:5], v2, off
.LBB0_8:
	s_endpgm
	.section	.rodata,"a",@progbits
	.p2align	6, 0x0
	.amdhsa_kernel _Z10SimulationPfS_PKfS1_Pmmjif
		.amdhsa_group_segment_fixed_size 0
		.amdhsa_private_segment_fixed_size 0
		.amdhsa_kernarg_size 320
		.amdhsa_user_sgpr_count 6
		.amdhsa_user_sgpr_private_segment_buffer 1
		.amdhsa_user_sgpr_dispatch_ptr 0
		.amdhsa_user_sgpr_queue_ptr 0
		.amdhsa_user_sgpr_kernarg_segment_ptr 1
		.amdhsa_user_sgpr_dispatch_id 0
		.amdhsa_user_sgpr_flat_scratch_init 0
		.amdhsa_user_sgpr_kernarg_preload_length 0
		.amdhsa_user_sgpr_kernarg_preload_offset 0
		.amdhsa_user_sgpr_private_segment_size 0
		.amdhsa_uses_dynamic_stack 0
		.amdhsa_system_sgpr_private_segment_wavefront_offset 0
		.amdhsa_system_sgpr_workgroup_id_x 1
		.amdhsa_system_sgpr_workgroup_id_y 0
		.amdhsa_system_sgpr_workgroup_id_z 0
		.amdhsa_system_sgpr_workgroup_info 0
		.amdhsa_system_vgpr_workitem_id 0
		.amdhsa_next_free_vgpr 27
		.amdhsa_next_free_sgpr 16
		.amdhsa_accum_offset 28
		.amdhsa_reserve_vcc 1
		.amdhsa_reserve_flat_scratch 0
		.amdhsa_float_round_mode_32 0
		.amdhsa_float_round_mode_16_64 0
		.amdhsa_float_denorm_mode_32 3
		.amdhsa_float_denorm_mode_16_64 3
		.amdhsa_dx10_clamp 1
		.amdhsa_ieee_mode 1
		.amdhsa_fp16_overflow 0
		.amdhsa_tg_split 0
		.amdhsa_exception_fp_ieee_invalid_op 0
		.amdhsa_exception_fp_denorm_src 0
		.amdhsa_exception_fp_ieee_div_zero 0
		.amdhsa_exception_fp_ieee_overflow 0
		.amdhsa_exception_fp_ieee_underflow 0
		.amdhsa_exception_fp_ieee_inexact 0
		.amdhsa_exception_int_div_zero 0
	.end_amdhsa_kernel
	.text
.Lfunc_end0:
	.size	_Z10SimulationPfS_PKfS1_Pmmjif, .Lfunc_end0-_Z10SimulationPfS_PKfS1_Pmmjif
                                        ; -- End function
	.section	.AMDGPU.csdata,"",@progbits
; Kernel info:
; codeLenInByte = 692
; NumSgprs: 20
; NumVgprs: 27
; NumAgprs: 0
; TotalNumVgprs: 27
; ScratchSize: 0
; MemoryBound: 0
; FloatMode: 240
; IeeeMode: 1
; LDSByteSize: 0 bytes/workgroup (compile time only)
; SGPRBlocks: 2
; VGPRBlocks: 3
; NumSGPRsForWavesPerEU: 20
; NumVGPRsForWavesPerEU: 27
; AccumOffset: 28
; Occupancy: 8
; WaveLimiterHint : 0
; COMPUTE_PGM_RSRC2:SCRATCH_EN: 0
; COMPUTE_PGM_RSRC2:USER_SGPR: 6
; COMPUTE_PGM_RSRC2:TRAP_HANDLER: 0
; COMPUTE_PGM_RSRC2:TGID_X_EN: 1
; COMPUTE_PGM_RSRC2:TGID_Y_EN: 0
; COMPUTE_PGM_RSRC2:TGID_Z_EN: 0
; COMPUTE_PGM_RSRC2:TIDIG_COMP_CNT: 0
; COMPUTE_PGM_RSRC3_GFX90A:ACCUM_OFFSET: 6
; COMPUTE_PGM_RSRC3_GFX90A:TG_SPLIT: 0
	.text
	.p2alignl 6, 3212836864
	.fill 256, 4, 3212836864
	.type	__hip_cuid_9823753906cdcae,@object ; @__hip_cuid_9823753906cdcae
	.section	.bss,"aw",@nobits
	.globl	__hip_cuid_9823753906cdcae
__hip_cuid_9823753906cdcae:
	.byte	0                               ; 0x0
	.size	__hip_cuid_9823753906cdcae, 1

	.ident	"AMD clang version 19.0.0git (https://github.com/RadeonOpenCompute/llvm-project roc-6.4.0 25133 c7fe45cf4b819c5991fe208aaa96edf142730f1d)"
	.section	".note.GNU-stack","",@progbits
	.addrsig
	.addrsig_sym __hip_cuid_9823753906cdcae
	.amdgpu_metadata
---
amdhsa.kernels:
  - .agpr_count:     0
    .args:
      - .address_space:  global
        .offset:         0
        .size:           8
        .value_kind:     global_buffer
      - .address_space:  global
        .offset:         8
        .size:           8
        .value_kind:     global_buffer
      - .actual_access:  read_only
        .address_space:  global
        .offset:         16
        .size:           8
        .value_kind:     global_buffer
      - .actual_access:  read_only
        .address_space:  global
        .offset:         24
        .size:           8
        .value_kind:     global_buffer
      - .address_space:  global
        .offset:         32
        .size:           8
        .value_kind:     global_buffer
      - .offset:         40
        .size:           8
        .value_kind:     by_value
      - .offset:         48
        .size:           4
        .value_kind:     by_value
      - .offset:         52
        .size:           4
        .value_kind:     by_value
      - .offset:         56
        .size:           4
        .value_kind:     by_value
      - .offset:         64
        .size:           4
        .value_kind:     hidden_block_count_x
      - .offset:         68
        .size:           4
        .value_kind:     hidden_block_count_y
      - .offset:         72
        .size:           4
        .value_kind:     hidden_block_count_z
      - .offset:         76
        .size:           2
        .value_kind:     hidden_group_size_x
      - .offset:         78
        .size:           2
        .value_kind:     hidden_group_size_y
      - .offset:         80
        .size:           2
        .value_kind:     hidden_group_size_z
      - .offset:         82
        .size:           2
        .value_kind:     hidden_remainder_x
      - .offset:         84
        .size:           2
        .value_kind:     hidden_remainder_y
      - .offset:         86
        .size:           2
        .value_kind:     hidden_remainder_z
      - .offset:         104
        .size:           8
        .value_kind:     hidden_global_offset_x
      - .offset:         112
        .size:           8
        .value_kind:     hidden_global_offset_y
      - .offset:         120
        .size:           8
        .value_kind:     hidden_global_offset_z
      - .offset:         128
        .size:           2
        .value_kind:     hidden_grid_dims
    .group_segment_fixed_size: 0
    .kernarg_segment_align: 8
    .kernarg_segment_size: 320
    .language:       OpenCL C
    .language_version:
      - 2
      - 0
    .max_flat_workgroup_size: 1024
    .name:           _Z10SimulationPfS_PKfS1_Pmmjif
    .private_segment_fixed_size: 0
    .sgpr_count:     20
    .sgpr_spill_count: 0
    .symbol:         _Z10SimulationPfS_PKfS1_Pmmjif.kd
    .uniform_work_group_size: 1
    .uses_dynamic_stack: false
    .vgpr_count:     27
    .vgpr_spill_count: 0
    .wavefront_size: 64
amdhsa.target:   amdgcn-amd-amdhsa--gfx90a
amdhsa.version:
  - 1
  - 2
...

	.end_amdgpu_metadata
